;; amdgpu-corpus repo=ROCm/rocFFT kind=compiled arch=gfx1201 opt=O3
	.text
	.amdgcn_target "amdgcn-amd-amdhsa--gfx1201"
	.amdhsa_code_object_version 6
	.protected	fft_rtc_back_len256_factors_8_4_4_2_wgs_256_tpt_32_dim2_dp_op_CI_CI_unitstride_sbrc_aligned_dirReg ; -- Begin function fft_rtc_back_len256_factors_8_4_4_2_wgs_256_tpt_32_dim2_dp_op_CI_CI_unitstride_sbrc_aligned_dirReg
	.globl	fft_rtc_back_len256_factors_8_4_4_2_wgs_256_tpt_32_dim2_dp_op_CI_CI_unitstride_sbrc_aligned_dirReg
	.p2align	8
	.type	fft_rtc_back_len256_factors_8_4_4_2_wgs_256_tpt_32_dim2_dp_op_CI_CI_unitstride_sbrc_aligned_dirReg,@function
fft_rtc_back_len256_factors_8_4_4_2_wgs_256_tpt_32_dim2_dp_op_CI_CI_unitstride_sbrc_aligned_dirReg: ; @fft_rtc_back_len256_factors_8_4_4_2_wgs_256_tpt_32_dim2_dp_op_CI_CI_unitstride_sbrc_aligned_dirReg
; %bb.0:
	s_load_b256 s[4:11], s[0:1], 0x0
	v_lshlrev_b32_e32 v5, 4, v0
	v_lshl_add_u32 v37, v0, 7, 0
	v_bfe_u32 v67, v0, 3, 3
	s_wait_kmcnt 0x0
	s_load_b32 s2, s[6:7], 0x8
	s_load_b128 s[12:15], s[8:9], 0x8
	s_wait_kmcnt 0x0
	s_add_co_i32 s2, s2, -1
	s_delay_alu instid0(SALU_CYCLE_1) | instskip(NEXT) | instid1(SALU_CYCLE_1)
	s_lshr_b32 s2, s2, 3
	s_add_co_i32 s16, s2, 1
	s_not_b32 s2, s2
	s_cvt_f32_u32 s3, s16
	s_delay_alu instid0(SALU_CYCLE_3) | instskip(NEXT) | instid1(TRANS32_DEP_1)
	v_rcp_iflag_f32_e32 v1, s3
	v_readfirstlane_b32 s3, v1
	s_delay_alu instid0(VALU_DEP_1) | instskip(SKIP_1) | instid1(SALU_CYCLE_2)
	s_mul_f32 s3, s3, 0x4f7ffffe
	s_wait_alu 0xfffe
	s_cvt_u32_f32 s3, s3
	s_wait_alu 0xfffe
	s_delay_alu instid0(SALU_CYCLE_2)
	s_mul_i32 s2, s2, s3
	s_wait_alu 0xfffe
	s_mul_hi_u32 s2, s3, s2
	s_wait_alu 0xfffe
	s_add_co_i32 s3, s3, s2
	s_wait_alu 0xfffe
	s_mul_hi_u32 s6, ttmp9, s3
	s_delay_alu instid0(SALU_CYCLE_1)
	s_mul_i32 s2, s6, s16
	s_add_co_i32 s8, s6, 1
	s_wait_alu 0xfffe
	s_sub_co_i32 s7, ttmp9, s2
	s_load_b128 s[0:3], s[0:1], 0x50
	s_sub_co_i32 s9, s7, s16
	s_cmp_ge_u32 s7, s16
	s_cselect_b32 s6, s8, s6
	s_cselect_b32 s7, s9, s7
	s_add_co_i32 s8, s6, 1
	s_cmp_ge_u32 s7, s16
	s_mov_b32 s9, 0
	s_cselect_b32 s6, s8, s6
	s_mov_b32 s7, s9
	s_mul_i32 s8, s6, s16
	s_mul_u64 s[14:15], s[14:15], s[6:7]
	s_sub_co_i32 s8, ttmp9, s8
	s_lshl_b64 s[14:15], s[14:15], 4
	s_lshl_b32 s16, s8, 3
	s_mov_b32 s13, s9
	s_mul_i32 s8, s16, s12
	s_lshl_b64 s[18:19], s[12:13], 4
	s_lshl_b64 s[20:21], s[8:9], 4
	s_wait_kmcnt 0x0
	s_add_nc_u64 s[0:1], s[0:1], s[14:15]
	s_add_co_i32 s8, s12, s12
	s_add_nc_u64 s[0:1], s[0:1], s[20:21]
	s_lshl_b64 s[22:23], s[8:9], 4
	v_add_co_u32 v13, s13, s0, v5
	s_delay_alu instid0(VALU_DEP_1) | instskip(SKIP_1) | instid1(VALU_DEP_2)
	v_add_co_ci_u32_e64 v14, null, s1, 0, s13
	s_add_co_i32 s8, s8, s12
	v_add_co_u32 v1, vcc_lo, v13, s18
	s_delay_alu instid0(VALU_DEP_2)
	v_add_co_ci_u32_e32 v2, vcc_lo, s19, v14, vcc_lo
	v_add_co_u32 v3, vcc_lo, v13, s22
	s_lshl_b64 s[14:15], s[8:9], 4
	s_add_co_i32 s8, s8, s12
	s_wait_alu 0xfffd
	v_add_co_ci_u32_e32 v4, vcc_lo, s23, v14, vcc_lo
	v_add_co_u32 v17, vcc_lo, v13, s14
	s_lshl_b64 s[20:21], s[8:9], 4
	s_add_co_i32 s8, s8, s12
	s_wait_alu 0xfffd
	;; [unrolled: 5-line block ×3, first 2 shown]
	v_add_co_ci_u32_e32 v22, vcc_lo, s21, v14, vcc_lo
	v_add_co_u32 v25, vcc_lo, v13, s24
	s_lshl_b64 s[14:15], s[8:9], 4
	s_wait_alu 0xfffd
	v_add_co_ci_u32_e32 v26, vcc_lo, s25, v14, vcc_lo
	s_add_co_i32 s8, s8, s12
	s_wait_alu 0xfffe
	v_add_co_u32 v29, vcc_lo, v13, s14
	s_lshl_b64 s[8:9], s[8:9], 4
	s_wait_alu 0xfffd
	v_add_co_ci_u32_e32 v30, vcc_lo, s15, v14, vcc_lo
	s_clause 0x1
	global_load_b128 v[5:8], v5, s[0:1]
	global_load_b128 v[9:12], v[1:2], off
	v_add_co_u32 v1, vcc_lo, v13, s8
	s_wait_alu 0xfffd
	v_add_co_ci_u32_e32 v2, vcc_lo, s9, v14, vcc_lo
	s_clause 0x5
	global_load_b128 v[13:16], v[3:4], off
	global_load_b128 v[17:20], v[17:18], off
	;; [unrolled: 1-line block ×6, first 2 shown]
	v_lshrrev_b32_e32 v2, 3, v0
	v_and_b32_e32 v1, 7, v0
	s_load_b128 s[8:11], s[10:11], 0x8
	s_mov_b32 s0, 0x667f3bcd
	s_mov_b32 s1, 0xbfe6a09e
	v_lshlrev_b32_e32 v4, 7, v2
	v_lshlrev_b32_e32 v3, 4, v1
	s_mov_b32 s13, 0x3fe6a09e
	s_wait_alu 0xfffe
	s_mov_b32 s12, s0
	v_lshrrev_b32_e32 v0, 1, v0
	s_wait_loadcnt 0x7
	ds_store_b128 v37, v[5:8]
	s_wait_loadcnt 0x6
	ds_store_b128 v37, v[9:12] offset:16
	s_wait_loadcnt 0x5
	ds_store_b128 v37, v[13:16] offset:32
	;; [unrolled: 2-line block ×7, first 2 shown]
	v_add3_u32 v4, 0, v4, v3
	global_wb scope:SCOPE_SE
	s_wait_dscnt 0x0
	s_wait_kmcnt 0x0
	s_barrier_signal -1
	s_barrier_wait -1
	global_inv scope:SCOPE_SE
	ds_load_b128 v[5:8], v4 offset:16384
	ds_load_b128 v[9:12], v4
	ds_load_b128 v[13:16], v4 offset:8192
	ds_load_b128 v[17:20], v4 offset:24576
	;; [unrolled: 1-line block ×6, first 2 shown]
	global_wb scope:SCOPE_SE
	s_wait_dscnt 0x0
	s_barrier_signal -1
	s_barrier_wait -1
	global_inv scope:SCOPE_SE
	v_and_or_b32 v0, 0x60, v0, v67
	s_delay_alu instid0(VALU_DEP_1)
	v_lshlrev_b32_e32 v0, 7, v0
	v_add_f64_e64 v[5:6], v[9:10], -v[5:6]
	v_add_f64_e64 v[7:8], v[11:12], -v[7:8]
	;; [unrolled: 1-line block ×8, first 2 shown]
	v_add3_u32 v0, 0, v0, v3
	v_fma_f64 v[9:10], v[9:10], 2.0, -v[5:6]
	v_fma_f64 v[11:12], v[11:12], 2.0, -v[7:8]
	;; [unrolled: 1-line block ×6, first 2 shown]
	v_add_f64_e32 v[37:38], v[5:6], v[19:20]
	v_add_f64_e64 v[39:40], v[7:8], -v[17:18]
	v_fma_f64 v[17:18], v[29:30], 2.0, -v[33:34]
	v_fma_f64 v[19:20], v[31:32], 2.0, -v[35:36]
	v_add_f64_e32 v[29:30], v[25:26], v[35:36]
	v_add_f64_e64 v[31:32], v[27:28], -v[33:34]
	v_add_f64_e64 v[33:34], v[9:10], -v[13:14]
	v_add_f64_e64 v[35:36], v[11:12], -v[15:16]
	v_fma_f64 v[41:42], v[5:6], 2.0, -v[37:38]
	v_fma_f64 v[43:44], v[7:8], 2.0, -v[39:40]
	v_add_f64_e64 v[7:8], v[21:22], -v[17:18]
	v_add_f64_e64 v[5:6], v[23:24], -v[19:20]
	v_fma_f64 v[19:20], v[25:26], 2.0, -v[29:30]
	v_fma_f64 v[17:18], v[27:28], 2.0, -v[31:32]
	s_wait_alu 0xfffe
	v_fma_f64 v[13:14], v[29:30], s[12:13], v[37:38]
	v_fma_f64 v[15:16], v[31:32], s[12:13], v[39:40]
	v_fma_f64 v[45:46], v[9:10], 2.0, -v[33:34]
	v_fma_f64 v[47:48], v[11:12], 2.0, -v[35:36]
	;; [unrolled: 1-line block ×4, first 2 shown]
	v_fma_f64 v[25:26], v[19:20], s[0:1], v[41:42]
	v_fma_f64 v[27:28], v[17:18], s[0:1], v[43:44]
	v_add_f64_e32 v[5:6], v[33:34], v[5:6]
	v_add_f64_e64 v[7:8], v[35:36], -v[7:8]
	v_fma_f64 v[9:10], v[31:32], s[12:13], v[13:14]
	v_fma_f64 v[11:12], v[29:30], s[0:1], v[15:16]
	v_add_f64_e64 v[13:14], v[45:46], -v[21:22]
	v_add_f64_e64 v[15:16], v[47:48], -v[23:24]
	v_fma_f64 v[17:18], v[17:18], s[12:13], v[25:26]
	v_fma_f64 v[19:20], v[19:20], s[0:1], v[27:28]
	v_fma_f64 v[21:22], v[33:34], 2.0, -v[5:6]
	v_fma_f64 v[23:24], v[35:36], 2.0, -v[7:8]
	;; [unrolled: 1-line block ×4, first 2 shown]
	v_mul_u32_u24_e32 v37, 3, v67
	v_mad_u32_u24 v38, 0x380, v2, v4
	s_mul_u64 s[0:1], s[10:11], s[6:7]
	s_wait_alu 0xfffe
	s_lshl_b64 s[0:1], s[0:1], 4
	v_lshlrev_b32_e32 v37, 4, v37
	s_wait_alu 0xfffe
	s_add_nc_u64 s[0:1], s[2:3], s[0:1]
	v_fma_f64 v[29:30], v[45:46], 2.0, -v[13:14]
	v_fma_f64 v[31:32], v[47:48], 2.0, -v[15:16]
	;; [unrolled: 1-line block ×4, first 2 shown]
	ds_store_b128 v38, v[5:8] offset:768
	ds_store_b128 v38, v[9:12] offset:896
	;; [unrolled: 1-line block ×6, first 2 shown]
	ds_store_b128 v38, v[29:32]
	ds_store_b128 v38, v[33:36] offset:128
	global_wb scope:SCOPE_SE
	s_wait_dscnt 0x0
	s_barrier_signal -1
	s_barrier_wait -1
	global_inv scope:SCOPE_SE
	s_clause 0x2
	global_load_b128 v[9:12], v37, s[4:5]
	global_load_b128 v[13:16], v37, s[4:5] offset:16
	global_load_b128 v[17:20], v37, s[4:5] offset:32
	v_or_b32_e32 v5, 64, v2
	s_delay_alu instid0(VALU_DEP_1) | instskip(NEXT) | instid1(VALU_DEP_1)
	v_lshlrev_b32_e32 v6, 7, v5
	v_add3_u32 v7, 0, v6, v3
	ds_load_b128 v[21:24], v7
	ds_load_b128 v[25:28], v4 offset:16384
	ds_load_b128 v[29:32], v4 offset:24576
	;; [unrolled: 1-line block ×5, first 2 shown]
	v_or_b32_e32 v6, 32, v2
	s_delay_alu instid0(VALU_DEP_1) | instskip(NEXT) | instid1(VALU_DEP_1)
	v_lshlrev_b32_e32 v8, 7, v6
	v_add3_u32 v8, 0, v8, v3
	ds_load_b128 v[45:48], v8
	s_wait_loadcnt_dscnt 0x206
	v_mul_f64_e32 v[49:50], v[23:24], v[11:12]
	v_mul_f64_e32 v[51:52], v[21:22], v[11:12]
	s_wait_dscnt 0x3
	v_mul_f64_e32 v[61:62], v[35:36], v[11:12]
	v_mul_f64_e32 v[11:12], v[33:34], v[11:12]
	s_wait_loadcnt 0x1
	v_mul_f64_e32 v[53:54], v[27:28], v[15:16]
	v_mul_f64_e32 v[55:56], v[25:26], v[15:16]
	s_wait_loadcnt 0x0
	v_mul_f64_e32 v[57:58], v[31:32], v[19:20]
	v_mul_f64_e32 v[59:60], v[29:30], v[19:20]
	s_wait_dscnt 0x2
	v_mul_f64_e32 v[63:64], v[39:40], v[15:16]
	v_mul_f64_e32 v[15:16], v[37:38], v[15:16]
	v_fma_f64 v[21:22], v[21:22], v[9:10], v[49:50]
	v_fma_f64 v[23:24], v[23:24], v[9:10], -v[51:52]
	v_fma_f64 v[33:34], v[33:34], v[9:10], v[61:62]
	v_fma_f64 v[35:36], v[35:36], v[9:10], -v[11:12]
	ds_load_b128 v[9:12], v4
	s_wait_dscnt 0x2
	v_mul_f64_e32 v[65:66], v[43:44], v[19:20]
	v_mul_f64_e32 v[19:20], v[41:42], v[19:20]
	v_fma_f64 v[25:26], v[25:26], v[13:14], v[53:54]
	v_fma_f64 v[27:28], v[27:28], v[13:14], -v[55:56]
	v_fma_f64 v[29:30], v[29:30], v[17:18], v[57:58]
	v_fma_f64 v[31:32], v[31:32], v[17:18], -v[59:60]
	;; [unrolled: 2-line block ×3, first 2 shown]
	global_wb scope:SCOPE_SE
	s_wait_dscnt 0x0
	s_barrier_signal -1
	s_barrier_wait -1
	global_inv scope:SCOPE_SE
	v_fma_f64 v[15:16], v[41:42], v[17:18], v[65:66]
	v_fma_f64 v[17:18], v[43:44], v[17:18], -v[19:20]
	v_add_f64_e64 v[25:26], v[9:10], -v[25:26]
	v_add_f64_e64 v[27:28], v[11:12], -v[27:28]
	;; [unrolled: 1-line block ×8, first 2 shown]
	v_fma_f64 v[37:38], v[9:10], 2.0, -v[25:26]
	v_fma_f64 v[39:40], v[11:12], 2.0, -v[27:28]
	;; [unrolled: 1-line block ×6, first 2 shown]
	v_add_f64_e64 v[11:12], v[27:28], -v[19:20]
	v_add_f64_e32 v[9:10], v[25:26], v[29:30]
	v_fma_f64 v[23:24], v[33:34], 2.0, -v[15:16]
	v_fma_f64 v[33:34], v[35:36], 2.0, -v[13:14]
	v_add_f64_e32 v[13:14], v[31:32], v[13:14]
	v_add_f64_e64 v[15:16], v[41:42], -v[15:16]
	v_add_f64_e64 v[17:18], v[37:38], -v[17:18]
	;; [unrolled: 1-line block ×3, first 2 shown]
	v_fma_f64 v[27:28], v[27:28], 2.0, -v[11:12]
	v_fma_f64 v[25:26], v[25:26], 2.0, -v[9:10]
	v_add_f64_e64 v[21:22], v[43:44], -v[23:24]
	v_add_f64_e64 v[23:24], v[45:46], -v[33:34]
	v_fma_f64 v[29:30], v[31:32], 2.0, -v[13:14]
	v_fma_f64 v[31:32], v[41:42], 2.0, -v[15:16]
	;; [unrolled: 1-line block ×4, first 2 shown]
	v_lshlrev_b32_e32 v41, 2, v6
	v_mul_u32_u24_e32 v42, 3, v2
	s_delay_alu instid0(VALU_DEP_2) | instskip(NEXT) | instid1(VALU_DEP_2)
	v_and_or_b32 v41, 0xe0, v41, v67
	v_lshlrev_b32_e32 v42, 4, v42
	s_delay_alu instid0(VALU_DEP_2) | instskip(NEXT) | instid1(VALU_DEP_1)
	v_lshlrev_b32_e32 v41, 7, v41
	v_add3_u32 v41, 0, v41, v3
	v_fma_f64 v[37:38], v[43:44], 2.0, -v[21:22]
	v_fma_f64 v[39:40], v[45:46], 2.0, -v[23:24]
	ds_store_b128 v0, v[17:20] offset:2048
	ds_store_b128 v0, v[9:12] offset:3072
	ds_store_b128 v0, v[33:36]
	ds_store_b128 v0, v[25:28] offset:1024
	ds_store_b128 v41, v[37:40]
	ds_store_b128 v41, v[29:32] offset:1024
	ds_store_b128 v41, v[21:24] offset:2048
	;; [unrolled: 1-line block ×3, first 2 shown]
	global_wb scope:SCOPE_SE
	s_wait_dscnt 0x0
	s_barrier_signal -1
	s_barrier_wait -1
	global_inv scope:SCOPE_SE
	s_clause 0x2
	global_load_b128 v[9:12], v42, s[4:5] offset:384
	global_load_b128 v[13:16], v42, s[4:5] offset:400
	global_load_b128 v[17:20], v42, s[4:5] offset:416
	ds_load_b128 v[21:24], v7
	ds_load_b128 v[25:28], v4 offset:16384
	ds_load_b128 v[29:32], v4 offset:24576
	;; [unrolled: 1-line block ×5, first 2 shown]
	ds_load_b128 v[45:48], v8
	v_lshlrev_b32_e32 v0, 4, v2
	s_wait_loadcnt_dscnt 0x206
	v_mul_f64_e32 v[49:50], v[23:24], v[11:12]
	v_mul_f64_e32 v[51:52], v[21:22], v[11:12]
	s_wait_loadcnt_dscnt 0x105
	v_mul_f64_e32 v[53:54], v[27:28], v[15:16]
	v_mul_f64_e32 v[55:56], v[25:26], v[15:16]
	;; [unrolled: 3-line block ×3, first 2 shown]
	s_wait_dscnt 0x3
	v_mul_f64_e32 v[61:62], v[35:36], v[11:12]
	v_mul_f64_e32 v[11:12], v[33:34], v[11:12]
	s_wait_dscnt 0x2
	v_mul_f64_e32 v[63:64], v[39:40], v[15:16]
	v_mul_f64_e32 v[15:16], v[37:38], v[15:16]
	;; [unrolled: 3-line block ×3, first 2 shown]
	v_fma_f64 v[21:22], v[21:22], v[9:10], v[49:50]
	v_fma_f64 v[23:24], v[23:24], v[9:10], -v[51:52]
	v_fma_f64 v[25:26], v[25:26], v[13:14], v[53:54]
	v_fma_f64 v[27:28], v[27:28], v[13:14], -v[55:56]
	;; [unrolled: 2-line block ×6, first 2 shown]
	ds_load_b128 v[9:12], v4
	v_or_b32_e32 v51, 0x60, v2
	global_wb scope:SCOPE_SE
	s_wait_dscnt 0x0
	s_barrier_signal -1
	s_barrier_wait -1
	global_inv scope:SCOPE_SE
	v_add_f64_e64 v[25:26], v[9:10], -v[25:26]
	v_add_f64_e64 v[27:28], v[11:12], -v[27:28]
	;; [unrolled: 1-line block ×8, first 2 shown]
	v_fma_f64 v[37:38], v[9:10], 2.0, -v[25:26]
	v_fma_f64 v[39:40], v[11:12], 2.0, -v[27:28]
	;; [unrolled: 1-line block ×4, first 2 shown]
	v_add_f64_e64 v[11:12], v[27:28], -v[19:20]
	v_add_f64_e32 v[9:10], v[25:26], v[29:30]
	v_fma_f64 v[43:44], v[45:46], 2.0, -v[31:32]
	v_fma_f64 v[45:46], v[47:48], 2.0, -v[41:42]
	;; [unrolled: 1-line block ×4, first 2 shown]
	v_add_f64_e32 v[13:14], v[31:32], v[13:14]
	v_add_f64_e64 v[15:16], v[41:42], -v[15:16]
	v_add_f64_e64 v[17:18], v[37:38], -v[17:18]
	;; [unrolled: 1-line block ×3, first 2 shown]
	v_fma_f64 v[27:28], v[27:28], 2.0, -v[11:12]
	v_fma_f64 v[25:26], v[25:26], 2.0, -v[9:10]
	v_add_f64_e64 v[21:22], v[43:44], -v[23:24]
	v_add_f64_e64 v[23:24], v[45:46], -v[33:34]
	v_fma_f64 v[29:30], v[31:32], 2.0, -v[13:14]
	v_fma_f64 v[31:32], v[41:42], 2.0, -v[15:16]
	v_lshlrev_b32_e32 v41, 4, v6
	v_lshlrev_b32_e32 v42, 4, v5
	v_fma_f64 v[33:34], v[37:38], 2.0, -v[17:18]
	v_fma_f64 v[35:36], v[39:40], 2.0, -v[19:20]
	;; [unrolled: 1-line block ×4, first 2 shown]
	ds_store_b128 v4, v[17:20] offset:8192
	ds_store_b128 v4, v[9:12] offset:12288
	;; [unrolled: 1-line block ×4, first 2 shown]
	ds_store_b128 v4, v[33:36]
	ds_store_b128 v4, v[25:28] offset:4096
	ds_store_b128 v4, v[37:40] offset:16384
	;; [unrolled: 1-line block ×3, first 2 shown]
	global_wb scope:SCOPE_SE
	s_wait_dscnt 0x0
	s_barrier_signal -1
	s_barrier_wait -1
	global_inv scope:SCOPE_SE
	global_load_b128 v[9:12], v0, s[4:5] offset:1920
	v_lshlrev_b32_e32 v0, 4, v51
	s_clause 0x2
	global_load_b128 v[13:16], v41, s[4:5] offset:1920
	global_load_b128 v[17:20], v42, s[4:5] offset:1920
	;; [unrolled: 1-line block ×3, first 2 shown]
	ds_load_b128 v[25:28], v4 offset:16384
	ds_load_b128 v[29:32], v4 offset:20480
	ds_load_b128 v[33:36], v4 offset:24576
	ds_load_b128 v[37:40], v4 offset:28672
	v_lshlrev_b32_e32 v0, 7, v51
	s_lshl_b32 s4, s8, 7
	s_delay_alu instid0(VALU_DEP_1)
	v_add3_u32 v0, 0, v0, v3
	s_wait_loadcnt_dscnt 0x303
	v_mul_f64_e32 v[41:42], v[27:28], v[11:12]
	v_mul_f64_e32 v[11:12], v[25:26], v[11:12]
	s_wait_loadcnt_dscnt 0x202
	v_mul_f64_e32 v[43:44], v[31:32], v[15:16]
	v_mul_f64_e32 v[15:16], v[29:30], v[15:16]
	;; [unrolled: 3-line block ×4, first 2 shown]
	v_fma_f64 v[25:26], v[25:26], v[9:10], v[41:42]
	v_fma_f64 v[27:28], v[27:28], v[9:10], -v[11:12]
	v_fma_f64 v[29:30], v[29:30], v[13:14], v[43:44]
	v_fma_f64 v[31:32], v[31:32], v[13:14], -v[15:16]
	;; [unrolled: 2-line block ×4, first 2 shown]
	ds_load_b128 v[9:12], v4
	ds_load_b128 v[13:16], v8
	;; [unrolled: 1-line block ×4, first 2 shown]
	v_mul_lo_u32 v0, v2, s8
	v_mov_b32_e32 v42, 0
	v_or_b32_e32 v41, s16, v1
	s_delay_alu instid0(VALU_DEP_2) | instskip(NEXT) | instid1(VALU_DEP_2)
	v_mov_b32_e32 v1, v42
	v_lshlrev_b64_e32 v[2:3], 4, v[41:42]
	v_add_nc_u32_e32 v41, s4, v0
	s_delay_alu instid0(VALU_DEP_3) | instskip(NEXT) | instid1(VALU_DEP_2)
	v_lshlrev_b64_e32 v[0:1], 4, v[0:1]
	v_lshlrev_b64_e32 v[7:8], 4, v[41:42]
	v_mul_lo_u32 v41, v6, s8
	s_wait_alu 0xfffe
	v_add_co_u32 v52, vcc_lo, s0, v2
	s_wait_alu 0xfffd
	v_add_co_ci_u32_e32 v53, vcc_lo, s1, v3, vcc_lo
	s_delay_alu instid0(VALU_DEP_2) | instskip(NEXT) | instid1(VALU_DEP_4)
	v_add_co_u32 v43, vcc_lo, v52, v0
	v_lshlrev_b64_e32 v[45:46], 4, v[41:42]
	v_add_nc_u32_e32 v41, s4, v41
	s_wait_alu 0xfffd
	v_add_co_ci_u32_e32 v44, vcc_lo, v53, v1, vcc_lo
	v_add_co_u32 v47, vcc_lo, v52, v7
	s_wait_dscnt 0x3
	v_add_f64_e64 v[25:26], v[9:10], -v[25:26]
	v_add_f64_e64 v[27:28], v[11:12], -v[27:28]
	s_wait_dscnt 0x2
	v_add_f64_e64 v[29:30], v[13:14], -v[29:30]
	v_add_f64_e64 v[31:32], v[15:16], -v[31:32]
	;; [unrolled: 3-line block ×4, first 2 shown]
	v_lshlrev_b64_e32 v[49:50], 4, v[41:42]
	v_mul_lo_u32 v41, v5, s8
	s_wait_alu 0xfffd
	v_add_co_ci_u32_e32 v48, vcc_lo, v53, v8, vcc_lo
	v_fma_f64 v[0:1], v[9:10], 2.0, -v[25:26]
	v_fma_f64 v[2:3], v[11:12], 2.0, -v[27:28]
	v_fma_f64 v[4:5], v[13:14], 2.0, -v[29:30]
	v_fma_f64 v[6:7], v[15:16], 2.0, -v[31:32]
	v_fma_f64 v[8:9], v[17:18], 2.0, -v[33:34]
	v_fma_f64 v[10:11], v[19:20], 2.0, -v[35:36]
	v_fma_f64 v[12:13], v[21:22], 2.0, -v[37:38]
	v_fma_f64 v[14:15], v[23:24], 2.0, -v[39:40]
	v_lshlrev_b64_e32 v[16:17], 4, v[41:42]
	v_add_nc_u32_e32 v41, s4, v41
	v_add_co_u32 v18, vcc_lo, v52, v45
	s_wait_alu 0xfffd
	v_add_co_ci_u32_e32 v19, vcc_lo, v53, v46, vcc_lo
	s_delay_alu instid0(VALU_DEP_3)
	v_lshlrev_b64_e32 v[20:21], 4, v[41:42]
	v_mul_lo_u32 v41, v51, s8
	v_add_co_u32 v22, vcc_lo, v52, v49
	s_wait_alu 0xfffd
	v_add_co_ci_u32_e32 v23, vcc_lo, v53, v50, vcc_lo
	v_add_co_u32 v16, vcc_lo, v52, v16
	s_wait_alu 0xfffd
	v_add_co_ci_u32_e32 v17, vcc_lo, v53, v17, vcc_lo
	v_lshlrev_b64_e32 v[45:46], 4, v[41:42]
	v_add_nc_u32_e32 v41, s4, v41
	v_add_co_u32 v20, vcc_lo, v52, v20
	s_wait_alu 0xfffd
	v_add_co_ci_u32_e32 v21, vcc_lo, v53, v21, vcc_lo
	s_delay_alu instid0(VALU_DEP_3) | instskip(SKIP_3) | instid1(VALU_DEP_3)
	v_lshlrev_b64_e32 v[41:42], 4, v[41:42]
	v_add_co_u32 v45, vcc_lo, v52, v45
	s_wait_alu 0xfffd
	v_add_co_ci_u32_e32 v46, vcc_lo, v53, v46, vcc_lo
	v_add_co_u32 v41, vcc_lo, v52, v41
	s_wait_alu 0xfffd
	v_add_co_ci_u32_e32 v42, vcc_lo, v53, v42, vcc_lo
	s_clause 0x7
	global_store_b128 v[43:44], v[0:3], off
	global_store_b128 v[47:48], v[25:28], off
	global_store_b128 v[18:19], v[4:7], off
	global_store_b128 v[22:23], v[29:32], off
	global_store_b128 v[16:17], v[8:11], off
	global_store_b128 v[20:21], v[33:36], off
	global_store_b128 v[45:46], v[12:15], off
	global_store_b128 v[41:42], v[37:40], off
	s_nop 0
	s_sendmsg sendmsg(MSG_DEALLOC_VGPRS)
	s_endpgm
	.section	.rodata,"a",@progbits
	.p2align	6, 0x0
	.amdhsa_kernel fft_rtc_back_len256_factors_8_4_4_2_wgs_256_tpt_32_dim2_dp_op_CI_CI_unitstride_sbrc_aligned_dirReg
		.amdhsa_group_segment_fixed_size 0
		.amdhsa_private_segment_fixed_size 0
		.amdhsa_kernarg_size 96
		.amdhsa_user_sgpr_count 2
		.amdhsa_user_sgpr_dispatch_ptr 0
		.amdhsa_user_sgpr_queue_ptr 0
		.amdhsa_user_sgpr_kernarg_segment_ptr 1
		.amdhsa_user_sgpr_dispatch_id 0
		.amdhsa_user_sgpr_private_segment_size 0
		.amdhsa_wavefront_size32 1
		.amdhsa_uses_dynamic_stack 0
		.amdhsa_enable_private_segment 0
		.amdhsa_system_sgpr_workgroup_id_x 1
		.amdhsa_system_sgpr_workgroup_id_y 0
		.amdhsa_system_sgpr_workgroup_id_z 0
		.amdhsa_system_sgpr_workgroup_info 0
		.amdhsa_system_vgpr_workitem_id 0
		.amdhsa_next_free_vgpr 68
		.amdhsa_next_free_sgpr 26
		.amdhsa_reserve_vcc 1
		.amdhsa_float_round_mode_32 0
		.amdhsa_float_round_mode_16_64 0
		.amdhsa_float_denorm_mode_32 3
		.amdhsa_float_denorm_mode_16_64 3
		.amdhsa_fp16_overflow 0
		.amdhsa_workgroup_processor_mode 1
		.amdhsa_memory_ordered 1
		.amdhsa_forward_progress 0
		.amdhsa_round_robin_scheduling 0
		.amdhsa_exception_fp_ieee_invalid_op 0
		.amdhsa_exception_fp_denorm_src 0
		.amdhsa_exception_fp_ieee_div_zero 0
		.amdhsa_exception_fp_ieee_overflow 0
		.amdhsa_exception_fp_ieee_underflow 0
		.amdhsa_exception_fp_ieee_inexact 0
		.amdhsa_exception_int_div_zero 0
	.end_amdhsa_kernel
	.text
.Lfunc_end0:
	.size	fft_rtc_back_len256_factors_8_4_4_2_wgs_256_tpt_32_dim2_dp_op_CI_CI_unitstride_sbrc_aligned_dirReg, .Lfunc_end0-fft_rtc_back_len256_factors_8_4_4_2_wgs_256_tpt_32_dim2_dp_op_CI_CI_unitstride_sbrc_aligned_dirReg
                                        ; -- End function
	.section	.AMDGPU.csdata,"",@progbits
; Kernel info:
; codeLenInByte = 3612
; NumSgprs: 28
; NumVgprs: 68
; ScratchSize: 0
; MemoryBound: 0
; FloatMode: 240
; IeeeMode: 1
; LDSByteSize: 0 bytes/workgroup (compile time only)
; SGPRBlocks: 3
; VGPRBlocks: 8
; NumSGPRsForWavesPerEU: 28
; NumVGPRsForWavesPerEU: 68
; Occupancy: 16
; WaveLimiterHint : 1
; COMPUTE_PGM_RSRC2:SCRATCH_EN: 0
; COMPUTE_PGM_RSRC2:USER_SGPR: 2
; COMPUTE_PGM_RSRC2:TRAP_HANDLER: 0
; COMPUTE_PGM_RSRC2:TGID_X_EN: 1
; COMPUTE_PGM_RSRC2:TGID_Y_EN: 0
; COMPUTE_PGM_RSRC2:TGID_Z_EN: 0
; COMPUTE_PGM_RSRC2:TIDIG_COMP_CNT: 0
	.text
	.p2alignl 7, 3214868480
	.fill 96, 4, 3214868480
	.type	__hip_cuid_698b5334faf39777,@object ; @__hip_cuid_698b5334faf39777
	.section	.bss,"aw",@nobits
	.globl	__hip_cuid_698b5334faf39777
__hip_cuid_698b5334faf39777:
	.byte	0                               ; 0x0
	.size	__hip_cuid_698b5334faf39777, 1

	.ident	"AMD clang version 19.0.0git (https://github.com/RadeonOpenCompute/llvm-project roc-6.4.0 25133 c7fe45cf4b819c5991fe208aaa96edf142730f1d)"
	.section	".note.GNU-stack","",@progbits
	.addrsig
	.addrsig_sym __hip_cuid_698b5334faf39777
	.amdgpu_metadata
---
amdhsa.kernels:
  - .args:
      - .actual_access:  read_only
        .address_space:  global
        .offset:         0
        .size:           8
        .value_kind:     global_buffer
      - .actual_access:  read_only
        .address_space:  global
        .offset:         8
        .size:           8
        .value_kind:     global_buffer
      - .actual_access:  read_only
        .address_space:  global
        .offset:         16
        .size:           8
        .value_kind:     global_buffer
      - .actual_access:  read_only
        .address_space:  global
        .offset:         24
        .size:           8
        .value_kind:     global_buffer
      - .offset:         32
        .size:           8
        .value_kind:     by_value
      - .actual_access:  read_only
        .address_space:  global
        .offset:         40
        .size:           8
        .value_kind:     global_buffer
      - .actual_access:  read_only
        .address_space:  global
        .offset:         48
        .size:           8
        .value_kind:     global_buffer
      - .offset:         56
        .size:           4
        .value_kind:     by_value
      - .actual_access:  read_only
        .address_space:  global
        .offset:         64
        .size:           8
        .value_kind:     global_buffer
      - .actual_access:  read_only
        .address_space:  global
        .offset:         72
        .size:           8
        .value_kind:     global_buffer
      - .actual_access:  read_only
        .address_space:  global
        .offset:         80
        .size:           8
        .value_kind:     global_buffer
      - .actual_access:  write_only
        .address_space:  global
        .offset:         88
        .size:           8
        .value_kind:     global_buffer
    .group_segment_fixed_size: 0
    .kernarg_segment_align: 8
    .kernarg_segment_size: 96
    .language:       OpenCL C
    .language_version:
      - 2
      - 0
    .max_flat_workgroup_size: 256
    .name:           fft_rtc_back_len256_factors_8_4_4_2_wgs_256_tpt_32_dim2_dp_op_CI_CI_unitstride_sbrc_aligned_dirReg
    .private_segment_fixed_size: 0
    .sgpr_count:     28
    .sgpr_spill_count: 0
    .symbol:         fft_rtc_back_len256_factors_8_4_4_2_wgs_256_tpt_32_dim2_dp_op_CI_CI_unitstride_sbrc_aligned_dirReg.kd
    .uniform_work_group_size: 1
    .uses_dynamic_stack: false
    .vgpr_count:     68
    .vgpr_spill_count: 0
    .wavefront_size: 32
    .workgroup_processor_mode: 1
amdhsa.target:   amdgcn-amd-amdhsa--gfx1201
amdhsa.version:
  - 1
  - 2
...

	.end_amdgpu_metadata
